;; amdgpu-corpus repo=ROCm/rocFFT kind=compiled arch=gfx906 opt=O3
	.text
	.amdgcn_target "amdgcn-amd-amdhsa--gfx906"
	.amdhsa_code_object_version 6
	.protected	fft_rtc_fwd_len3888_factors_16_3_3_3_3_3_wgs_324_tpt_324_halfLds_sp_op_CI_CI_unitstride_sbrr_R2C_dirReg ; -- Begin function fft_rtc_fwd_len3888_factors_16_3_3_3_3_3_wgs_324_tpt_324_halfLds_sp_op_CI_CI_unitstride_sbrr_R2C_dirReg
	.globl	fft_rtc_fwd_len3888_factors_16_3_3_3_3_3_wgs_324_tpt_324_halfLds_sp_op_CI_CI_unitstride_sbrr_R2C_dirReg
	.p2align	8
	.type	fft_rtc_fwd_len3888_factors_16_3_3_3_3_3_wgs_324_tpt_324_halfLds_sp_op_CI_CI_unitstride_sbrr_R2C_dirReg,@function
fft_rtc_fwd_len3888_factors_16_3_3_3_3_3_wgs_324_tpt_324_halfLds_sp_op_CI_CI_unitstride_sbrr_R2C_dirReg: ; @fft_rtc_fwd_len3888_factors_16_3_3_3_3_3_wgs_324_tpt_324_halfLds_sp_op_CI_CI_unitstride_sbrr_R2C_dirReg
; %bb.0:
	s_load_dwordx4 s[8:11], s[4:5], 0x58
	s_load_dwordx4 s[12:15], s[4:5], 0x0
	;; [unrolled: 1-line block ×3, first 2 shown]
	v_mul_u32_u24_e32 v1, 0x195, v0
	v_lshrrev_b32_e32 v1, 17, v1
	v_add_u32_e32 v5, s6, v1
	s_waitcnt lgkmcnt(0)
	v_cmp_lt_u64_e64 s[0:1], s[14:15], 2
	v_mov_b32_e32 v3, 0
	v_mov_b32_e32 v1, 0
	;; [unrolled: 1-line block ×3, first 2 shown]
	s_and_b64 vcc, exec, s[0:1]
	v_mov_b32_e32 v2, 0
	s_cbranch_vccnz .LBB0_8
; %bb.1:
	s_load_dwordx2 s[0:1], s[4:5], 0x10
	s_add_u32 s2, s18, 8
	s_addc_u32 s3, s19, 0
	s_add_u32 s6, s16, 8
	v_mov_b32_e32 v1, 0
	s_addc_u32 s7, s17, 0
	v_mov_b32_e32 v2, 0
	s_waitcnt lgkmcnt(0)
	s_add_u32 s20, s0, 8
	v_mov_b32_e32 v33, v2
	s_addc_u32 s21, s1, 0
	s_mov_b64 s[22:23], 1
	v_mov_b32_e32 v32, v1
.LBB0_2:                                ; =>This Inner Loop Header: Depth=1
	s_load_dwordx2 s[24:25], s[20:21], 0x0
                                        ; implicit-def: $vgpr36_vgpr37
	s_waitcnt lgkmcnt(0)
	v_or_b32_e32 v4, s25, v6
	v_cmp_ne_u64_e32 vcc, 0, v[3:4]
	s_and_saveexec_b64 s[0:1], vcc
	s_xor_b64 s[26:27], exec, s[0:1]
	s_cbranch_execz .LBB0_4
; %bb.3:                                ;   in Loop: Header=BB0_2 Depth=1
	v_cvt_f32_u32_e32 v4, s24
	v_cvt_f32_u32_e32 v7, s25
	s_sub_u32 s0, 0, s24
	s_subb_u32 s1, 0, s25
	v_mac_f32_e32 v4, 0x4f800000, v7
	v_rcp_f32_e32 v4, v4
	v_mul_f32_e32 v4, 0x5f7ffffc, v4
	v_mul_f32_e32 v7, 0x2f800000, v4
	v_trunc_f32_e32 v7, v7
	v_mac_f32_e32 v4, 0xcf800000, v7
	v_cvt_u32_f32_e32 v7, v7
	v_cvt_u32_f32_e32 v4, v4
	v_mul_lo_u32 v8, s0, v7
	v_mul_hi_u32 v9, s0, v4
	v_mul_lo_u32 v11, s1, v4
	v_mul_lo_u32 v10, s0, v4
	v_add_u32_e32 v8, v9, v8
	v_add_u32_e32 v8, v8, v11
	v_mul_hi_u32 v9, v4, v10
	v_mul_lo_u32 v11, v4, v8
	v_mul_hi_u32 v13, v4, v8
	v_mul_hi_u32 v12, v7, v10
	v_mul_lo_u32 v10, v7, v10
	v_mul_hi_u32 v14, v7, v8
	v_add_co_u32_e32 v9, vcc, v9, v11
	v_addc_co_u32_e32 v11, vcc, 0, v13, vcc
	v_mul_lo_u32 v8, v7, v8
	v_add_co_u32_e32 v9, vcc, v9, v10
	v_addc_co_u32_e32 v9, vcc, v11, v12, vcc
	v_addc_co_u32_e32 v10, vcc, 0, v14, vcc
	v_add_co_u32_e32 v8, vcc, v9, v8
	v_addc_co_u32_e32 v9, vcc, 0, v10, vcc
	v_add_co_u32_e32 v4, vcc, v4, v8
	v_addc_co_u32_e32 v7, vcc, v7, v9, vcc
	v_mul_lo_u32 v8, s0, v7
	v_mul_hi_u32 v9, s0, v4
	v_mul_lo_u32 v10, s1, v4
	v_mul_lo_u32 v11, s0, v4
	v_add_u32_e32 v8, v9, v8
	v_add_u32_e32 v8, v8, v10
	v_mul_lo_u32 v12, v4, v8
	v_mul_hi_u32 v13, v4, v11
	v_mul_hi_u32 v14, v4, v8
	;; [unrolled: 1-line block ×3, first 2 shown]
	v_mul_lo_u32 v11, v7, v11
	v_mul_hi_u32 v9, v7, v8
	v_add_co_u32_e32 v12, vcc, v13, v12
	v_addc_co_u32_e32 v13, vcc, 0, v14, vcc
	v_mul_lo_u32 v8, v7, v8
	v_add_co_u32_e32 v11, vcc, v12, v11
	v_addc_co_u32_e32 v10, vcc, v13, v10, vcc
	v_addc_co_u32_e32 v9, vcc, 0, v9, vcc
	v_add_co_u32_e32 v8, vcc, v10, v8
	v_addc_co_u32_e32 v9, vcc, 0, v9, vcc
	v_add_co_u32_e32 v4, vcc, v4, v8
	v_addc_co_u32_e32 v9, vcc, v7, v9, vcc
	v_mad_u64_u32 v[7:8], s[0:1], v5, v9, 0
	v_mul_hi_u32 v10, v5, v4
	v_add_co_u32_e32 v11, vcc, v10, v7
	v_addc_co_u32_e32 v12, vcc, 0, v8, vcc
	v_mad_u64_u32 v[7:8], s[0:1], v6, v4, 0
	v_mad_u64_u32 v[9:10], s[0:1], v6, v9, 0
	v_add_co_u32_e32 v4, vcc, v11, v7
	v_addc_co_u32_e32 v4, vcc, v12, v8, vcc
	v_addc_co_u32_e32 v7, vcc, 0, v10, vcc
	v_add_co_u32_e32 v4, vcc, v4, v9
	v_addc_co_u32_e32 v9, vcc, 0, v7, vcc
	v_mul_lo_u32 v10, s25, v4
	v_mul_lo_u32 v11, s24, v9
	v_mad_u64_u32 v[7:8], s[0:1], s24, v4, 0
	v_add3_u32 v8, v8, v11, v10
	v_sub_u32_e32 v10, v6, v8
	v_mov_b32_e32 v11, s25
	v_sub_co_u32_e32 v7, vcc, v5, v7
	v_subb_co_u32_e64 v10, s[0:1], v10, v11, vcc
	v_subrev_co_u32_e64 v11, s[0:1], s24, v7
	v_subbrev_co_u32_e64 v10, s[0:1], 0, v10, s[0:1]
	v_cmp_le_u32_e64 s[0:1], s25, v10
	v_cndmask_b32_e64 v12, 0, -1, s[0:1]
	v_cmp_le_u32_e64 s[0:1], s24, v11
	v_cndmask_b32_e64 v11, 0, -1, s[0:1]
	v_cmp_eq_u32_e64 s[0:1], s25, v10
	v_cndmask_b32_e64 v10, v12, v11, s[0:1]
	v_add_co_u32_e64 v11, s[0:1], 2, v4
	v_addc_co_u32_e64 v12, s[0:1], 0, v9, s[0:1]
	v_add_co_u32_e64 v13, s[0:1], 1, v4
	v_addc_co_u32_e64 v14, s[0:1], 0, v9, s[0:1]
	v_subb_co_u32_e32 v8, vcc, v6, v8, vcc
	v_cmp_ne_u32_e64 s[0:1], 0, v10
	v_cmp_le_u32_e32 vcc, s25, v8
	v_cndmask_b32_e64 v10, v14, v12, s[0:1]
	v_cndmask_b32_e64 v12, 0, -1, vcc
	v_cmp_le_u32_e32 vcc, s24, v7
	v_cndmask_b32_e64 v7, 0, -1, vcc
	v_cmp_eq_u32_e32 vcc, s25, v8
	v_cndmask_b32_e32 v7, v12, v7, vcc
	v_cmp_ne_u32_e32 vcc, 0, v7
	v_cndmask_b32_e64 v7, v13, v11, s[0:1]
	v_cndmask_b32_e32 v37, v9, v10, vcc
	v_cndmask_b32_e32 v36, v4, v7, vcc
.LBB0_4:                                ;   in Loop: Header=BB0_2 Depth=1
	s_andn2_saveexec_b64 s[0:1], s[26:27]
	s_cbranch_execz .LBB0_6
; %bb.5:                                ;   in Loop: Header=BB0_2 Depth=1
	v_cvt_f32_u32_e32 v4, s24
	s_sub_i32 s26, 0, s24
	v_mov_b32_e32 v37, v3
	v_rcp_iflag_f32_e32 v4, v4
	v_mul_f32_e32 v4, 0x4f7ffffe, v4
	v_cvt_u32_f32_e32 v4, v4
	v_mul_lo_u32 v7, s26, v4
	v_mul_hi_u32 v7, v4, v7
	v_add_u32_e32 v4, v4, v7
	v_mul_hi_u32 v4, v5, v4
	v_mul_lo_u32 v7, v4, s24
	v_add_u32_e32 v8, 1, v4
	v_sub_u32_e32 v7, v5, v7
	v_subrev_u32_e32 v9, s24, v7
	v_cmp_le_u32_e32 vcc, s24, v7
	v_cndmask_b32_e32 v7, v7, v9, vcc
	v_cndmask_b32_e32 v4, v4, v8, vcc
	v_add_u32_e32 v8, 1, v4
	v_cmp_le_u32_e32 vcc, s24, v7
	v_cndmask_b32_e32 v36, v4, v8, vcc
.LBB0_6:                                ;   in Loop: Header=BB0_2 Depth=1
	s_or_b64 exec, exec, s[0:1]
	v_mul_lo_u32 v4, v37, s24
	v_mul_lo_u32 v9, v36, s25
	v_mad_u64_u32 v[7:8], s[0:1], v36, s24, 0
	s_load_dwordx2 s[0:1], s[6:7], 0x0
	s_load_dwordx2 s[24:25], s[2:3], 0x0
	v_add3_u32 v4, v8, v9, v4
	v_sub_co_u32_e32 v5, vcc, v5, v7
	v_subb_co_u32_e32 v4, vcc, v6, v4, vcc
	s_waitcnt lgkmcnt(0)
	v_mul_lo_u32 v6, s0, v4
	v_mul_lo_u32 v7, s1, v5
	v_mad_u64_u32 v[1:2], s[0:1], s0, v5, v[1:2]
	v_mul_lo_u32 v4, s24, v4
	v_mul_lo_u32 v8, s25, v5
	v_mad_u64_u32 v[32:33], s[0:1], s24, v5, v[32:33]
	s_add_u32 s22, s22, 1
	s_addc_u32 s23, s23, 0
	s_add_u32 s2, s2, 8
	v_add3_u32 v33, v8, v33, v4
	s_addc_u32 s3, s3, 0
	v_mov_b32_e32 v4, s14
	s_add_u32 s6, s6, 8
	v_mov_b32_e32 v5, s15
	s_addc_u32 s7, s7, 0
	v_cmp_ge_u64_e32 vcc, s[22:23], v[4:5]
	s_add_u32 s20, s20, 8
	v_add3_u32 v2, v7, v2, v6
	s_addc_u32 s21, s21, 0
	s_cbranch_vccnz .LBB0_9
; %bb.7:                                ;   in Loop: Header=BB0_2 Depth=1
	v_mov_b32_e32 v5, v36
	v_mov_b32_e32 v6, v37
	s_branch .LBB0_2
.LBB0_8:
	v_mov_b32_e32 v33, v2
	v_mov_b32_e32 v37, v6
	;; [unrolled: 1-line block ×4, first 2 shown]
.LBB0_9:
	s_load_dwordx2 s[4:5], s[4:5], 0x28
	s_lshl_b64 s[6:7], s[14:15], 3
	s_add_u32 s2, s18, s6
	s_addc_u32 s3, s19, s7
                                        ; implicit-def: $vgpr34
	s_waitcnt lgkmcnt(0)
	v_cmp_gt_u64_e64 s[0:1], s[4:5], v[36:37]
	v_cmp_le_u64_e32 vcc, s[4:5], v[36:37]
	s_and_saveexec_b64 s[4:5], vcc
	s_xor_b64 s[4:5], exec, s[4:5]
; %bb.10:
	v_mul_hi_u32_u24_e32 v1, 0xca4588, v0
	v_mul_u32_u24_e32 v1, 0x144, v1
	v_sub_u32_e32 v34, v0, v1
                                        ; implicit-def: $vgpr0
                                        ; implicit-def: $vgpr1_vgpr2
; %bb.11:
	s_andn2_saveexec_b64 s[4:5], s[4:5]
	s_cbranch_execz .LBB0_13
; %bb.12:
	s_add_u32 s6, s16, s6
	s_addc_u32 s7, s17, s7
	s_load_dwordx2 s[6:7], s[6:7], 0x0
	v_mul_hi_u32_u24_e32 v5, 0xca4588, v0
	v_mul_u32_u24_e32 v5, 0x144, v5
	v_mov_b32_e32 v8, s9
	v_sub_u32_e32 v34, v0, v5
	s_waitcnt lgkmcnt(0)
	v_mul_lo_u32 v6, s7, v36
	v_mul_lo_u32 v7, s6, v37
	v_mad_u64_u32 v[3:4], s[6:7], s6, v36, 0
	v_lshlrev_b64 v[0:1], 3, v[1:2]
	v_lshlrev_b32_e32 v35, 3, v34
	v_add3_u32 v4, v4, v7, v6
	v_lshlrev_b64 v[3:4], 3, v[3:4]
	s_movk_i32 s6, 0x1000
	v_add_co_u32_e32 v3, vcc, s8, v3
	v_addc_co_u32_e32 v4, vcc, v8, v4, vcc
	v_add_co_u32_e32 v0, vcc, v3, v0
	v_addc_co_u32_e32 v1, vcc, v4, v1, vcc
	;; [unrolled: 2-line block ×4, first 2 shown]
	s_movk_i32 s6, 0x2000
	v_add_co_u32_e32 v4, vcc, s6, v0
	v_addc_co_u32_e32 v5, vcc, 0, v1, vcc
	s_movk_i32 s6, 0x3000
	v_add_co_u32_e32 v6, vcc, s6, v0
	v_addc_co_u32_e32 v7, vcc, 0, v1, vcc
	;; [unrolled: 3-line block ×3, first 2 shown]
	v_add_co_u32_e32 v10, vcc, 0x5000, v0
	v_addc_co_u32_e32 v11, vcc, 0, v1, vcc
	v_add_co_u32_e32 v12, vcc, 0x6000, v0
	v_addc_co_u32_e32 v13, vcc, 0, v1, vcc
	global_load_dwordx2 v[14:15], v[0:1], off
	global_load_dwordx2 v[16:17], v[0:1], off offset:2592
	global_load_dwordx2 v[18:19], v[2:3], off offset:1088
	;; [unrolled: 1-line block ×11, first 2 shown]
	v_add_u32_e32 v0, 0, v35
	s_waitcnt vmcnt(11)
	ds_write_b64 v0, v[14:15]
	s_waitcnt vmcnt(10)
	ds_write_b64 v0, v[16:17] offset:2592
	s_waitcnt vmcnt(9)
	ds_write_b64 v0, v[18:19] offset:5184
	;; [unrolled: 2-line block ×11, first 2 shown]
.LBB0_13:
	s_or_b64 exec, exec, s[4:5]
	v_lshl_add_u32 v38, v34, 3, 0
	v_add_u32_e32 v12, 0x3c80, v38
	s_waitcnt lgkmcnt(0)
	s_barrier
	v_add_u32_e32 v4, 0x1e00, v38
	ds_read2_b64 v[16:19], v12 offset0:8 offset1:251
	v_add_u32_e32 v12, 0x4bc0, v38
	v_add_u32_e32 v0, 0xf00, v38
	ds_read2_b64 v[8:11], v4 offset0:12 offset1:255
	v_add_u32_e32 v4, 0x2d80, v38
	ds_read2_b64 v[24:27], v12 offset0:6 offset1:249
	v_add_u32_e32 v12, 0x5b00, v38
	v_add_u32_e32 v13, 0x6a00, v38
	ds_read2_b64 v[0:3], v0 offset0:6 offset1:249
	ds_read2_b64 v[4:7], v4 offset0:2 offset1:245
	;; [unrolled: 1-line block ×4, first 2 shown]
	ds_read2_b64 v[12:15], v38 offset1:243
	s_movk_i32 s4, 0xf3
	v_cmp_gt_u32_e32 vcc, s4, v34
	s_waitcnt lgkmcnt(0)
	s_barrier
	s_and_saveexec_b64 s[4:5], vcc
	s_cbranch_execz .LBB0_15
; %bb.14:
	v_sub_f32_e32 v18, v14, v18
	v_sub_f32_e32 v19, v15, v19
	;; [unrolled: 1-line block ×9, first 2 shown]
	v_fma_f32 v10, v10, 2.0, -v22
	v_fma_f32 v11, v11, 2.0, -v23
	v_sub_f32_e32 v23, v18, v23
	v_add_f32_e32 v22, v19, v22
	v_sub_f32_e32 v28, v4, v28
	v_sub_f32_e32 v24, v0, v24
	;; [unrolled: 1-line block ×5, first 2 shown]
	v_fma_f32 v39, v3, 2.0, -v27
	v_fma_f32 v7, v7, 2.0, -v31
	v_fma_f32 v6, v6, 2.0, -v30
	v_fma_f32 v43, v5, 2.0, -v29
	v_sub_f32_e32 v31, v26, v31
	v_add_f32_e32 v30, v27, v30
	v_fma_f32 v3, v18, 2.0, -v23
	v_fma_f32 v5, v19, 2.0, -v22
	v_sub_f32_e32 v17, v13, v17
	v_sub_f32_e32 v20, v8, v20
	v_fma_f32 v9, v9, 2.0, -v21
	v_fma_f32 v35, v0, 2.0, -v24
	;; [unrolled: 1-line block ×7, first 2 shown]
	v_mov_b32_e32 v0, v3
	v_mov_b32_e32 v1, v5
	v_sub_f32_e32 v21, v16, v21
	v_fma_f32 v14, v14, 2.0, -v18
	v_fma_f32 v15, v15, 2.0, -v19
	v_fma_f32 v12, v12, 2.0, -v16
	v_fma_f32 v8, v8, 2.0, -v20
	v_fmac_f32_e32 v0, 0xbf3504f3, v2
	v_fmac_f32_e32 v1, 0xbf3504f3, v4
	v_sub_f32_e32 v18, v24, v29
	v_add_f32_e32 v19, v25, v28
	v_add_f32_e32 v20, v17, v20
	v_fma_f32 v16, v16, 2.0, -v21
	v_fma_f32 v13, v13, 2.0, -v17
	v_fmac_f32_e32 v0, 0xbf3504f3, v4
	v_fmac_f32_e32 v1, 0x3f3504f3, v2
	v_fma_f32 v2, v24, 2.0, -v18
	v_fma_f32 v4, v25, 2.0, -v19
	;; [unrolled: 1-line block ×3, first 2 shown]
	v_mov_b32_e32 v25, v16
	v_mov_b32_e32 v24, v17
	v_fmac_f32_e32 v25, 0xbf3504f3, v2
	v_fmac_f32_e32 v24, 0xbf3504f3, v4
	;; [unrolled: 1-line block ×4, first 2 shown]
	v_fma_f32 v16, v16, 2.0, -v25
	v_fma_f32 v4, v3, 2.0, -v0
	;; [unrolled: 1-line block ×3, first 2 shown]
	v_mov_b32_e32 v2, v16
	v_fma_f32 v5, v5, 2.0, -v1
	v_mov_b32_e32 v3, v17
	v_fmac_f32_e32 v2, 0xbf6c835e, v4
	v_fmac_f32_e32 v3, 0xbf6c835e, v5
	;; [unrolled: 1-line block ×3, first 2 shown]
	v_sub_f32_e32 v10, v14, v10
	v_sub_f32_e32 v27, v40, v6
	v_fmac_f32_e32 v3, 0x3ec3ef15, v4
	v_fma_f32 v4, v16, 2.0, -v2
	v_sub_f32_e32 v16, v35, v42
	v_sub_f32_e32 v26, v39, v7
	;; [unrolled: 1-line block ×3, first 2 shown]
	v_fma_f32 v6, v40, 2.0, -v27
	v_sub_f32_e32 v28, v12, v8
	v_fma_f32 v14, v14, 2.0, -v10
	v_fma_f32 v5, v17, 2.0, -v3
	v_sub_f32_e32 v17, v13, v9
	v_fma_f32 v9, v35, 2.0, -v16
	;; [unrolled: 3-line block ×4, first 2 shown]
	v_fma_f32 v13, v13, 2.0, -v17
	v_sub_f32_e32 v40, v12, v9
	v_sub_f32_e32 v41, v15, v7
	v_fma_f32 v9, v14, 2.0, -v39
	v_mov_b32_e32 v14, v20
	v_sub_f32_e32 v35, v13, v8
	v_fma_f32 v6, v15, 2.0, -v41
	v_fmac_f32_e32 v14, 0x3f3504f3, v19
	v_mov_b32_e32 v15, v21
	v_fma_f32 v8, v13, 2.0, -v35
	v_fma_f32 v12, v12, 2.0, -v40
	v_fmac_f32_e32 v14, 0x3f3504f3, v18
	v_fmac_f32_e32 v15, 0x3f3504f3, v18
	v_mov_b32_e32 v18, v23
	v_sub_f32_e32 v7, v8, v6
	v_sub_f32_e32 v6, v12, v9
	s_movk_i32 s6, 0x78
	v_fmac_f32_e32 v15, 0xbf3504f3, v19
	v_fmac_f32_e32 v18, 0x3f3504f3, v31
	v_mov_b32_e32 v19, v22
	v_fma_f32 v9, v8, 2.0, -v7
	v_fma_f32 v8, v12, 2.0, -v6
	v_mad_u32_u24 v42, v34, s6, v38
	v_fmac_f32_e32 v19, 0x3f3504f3, v30
	v_fmac_f32_e32 v18, 0xbf3504f3, v30
	v_fma_f32 v13, v21, 2.0, -v15
	ds_write2_b64 v42, v[8:9], v[4:5] offset1:1
	v_fmac_f32_e32 v19, 0x3f3504f3, v31
	v_fma_f32 v8, v23, 2.0, -v18
	v_fma_f32 v9, v20, 2.0, -v14
	v_mov_b32_e32 v4, v13
	v_fma_f32 v12, v22, 2.0, -v19
	v_mov_b32_e32 v5, v9
	v_fmac_f32_e32 v4, 0xbec3ef15, v8
	v_fmac_f32_e32 v5, 0xbec3ef15, v12
	;; [unrolled: 1-line block ×3, first 2 shown]
	v_add_f32_e32 v16, v17, v16
	v_sub_f32_e32 v22, v28, v29
	v_fmac_f32_e32 v5, 0x3f6c835e, v8
	v_fma_f32 v8, v13, 2.0, -v4
	v_sub_f32_e32 v20, v10, v26
	v_add_f32_e32 v21, v11, v27
	v_fma_f32 v13, v17, 2.0, -v16
	v_fma_f32 v23, v28, 2.0, -v22
	;; [unrolled: 1-line block ×4, first 2 shown]
	v_mov_b32_e32 v11, v13
	v_mov_b32_e32 v10, v23
	v_fmac_f32_e32 v11, 0xbf3504f3, v17
	v_fmac_f32_e32 v10, 0xbf3504f3, v12
	;; [unrolled: 1-line block ×4, first 2 shown]
	v_fma_f32 v9, v9, 2.0, -v5
	v_fma_f32 v13, v13, 2.0, -v11
	v_fma_f32 v12, v23, 2.0, -v10
	ds_write2_b64 v42, v[12:13], v[8:9] offset0:2 offset1:3
	v_mov_b32_e32 v9, v14
	v_mov_b32_e32 v8, v15
	v_fmac_f32_e32 v9, 0x3f6c835e, v19
	v_fmac_f32_e32 v8, 0x3f6c835e, v18
	;; [unrolled: 1-line block ×4, first 2 shown]
	v_fma_f32 v13, v14, 2.0, -v9
	v_fma_f32 v12, v15, 2.0, -v8
	v_mov_b32_e32 v15, v16
	v_mov_b32_e32 v14, v22
	;; [unrolled: 1-line block ×4, first 2 shown]
	v_fmac_f32_e32 v15, 0x3f3504f3, v21
	v_fmac_f32_e32 v14, 0x3f3504f3, v20
	v_fmac_f32_e32 v19, 0x3ec3ef15, v1
	v_fmac_f32_e32 v18, 0x3ec3ef15, v0
	v_fmac_f32_e32 v15, 0x3f3504f3, v20
	v_fmac_f32_e32 v14, 0xbf3504f3, v21
	v_fmac_f32_e32 v19, 0x3f6c835e, v0
	v_fmac_f32_e32 v18, 0xbf6c835e, v1
	v_sub_f32_e32 v20, v40, v41
	v_add_f32_e32 v21, v35, v39
	v_fma_f32 v17, v16, 2.0, -v15
	v_fma_f32 v16, v22, 2.0, -v14
	;; [unrolled: 1-line block ×6, first 2 shown]
	ds_write2_b64 v42, v[22:23], v[0:1] offset0:4 offset1:5
	ds_write2_b64 v42, v[16:17], v[12:13] offset0:6 offset1:7
	;; [unrolled: 1-line block ×6, first 2 shown]
.LBB0_15:
	s_or_b64 exec, exec, s[4:5]
	v_and_b32_e32 v12, 15, v34
	v_add_u32_e32 v8, 0x144, v34
	v_lshlrev_b32_e32 v0, 4, v12
	v_and_b32_e32 v10, 15, v8
	v_add_u32_e32 v7, 0x288, v34
	s_load_dwordx2 s[2:3], s[2:3], 0x0
	s_waitcnt lgkmcnt(0)
	s_barrier
	global_load_dwordx4 v[0:3], v0, s[12:13]
	v_lshlrev_b32_e32 v4, 4, v10
	global_load_dwordx4 v[13:16], v4, s[12:13]
	v_and_b32_e32 v11, 15, v7
	v_lshlrev_b32_e32 v4, 4, v11
	v_add_u32_e32 v6, 0x3cc, v34
	global_load_dwordx4 v[17:20], v4, s[12:13]
	v_and_b32_e32 v9, 15, v6
	v_lshlrev_b32_e32 v4, 4, v9
	global_load_dwordx4 v[21:24], v4, s[12:13]
	ds_read_b64 v[4:5], v38 offset:10368
	ds_read_b64 v[25:26], v38 offset:12960
	v_add_u32_e32 v31, 0x3c00, v38
	ds_read_b64 v[27:28], v38 offset:20736
	ds_read_b64 v[29:30], v38 offset:18144
	;; [unrolled: 1-line block ×5, first 2 shown]
	ds_read2_b32 v[45:46], v31 offset0:48 offset1:49
	s_mov_b32 s4, 0xaaab
	s_add_u32 s6, s12, 0x7900
	s_addc_u32 s7, s13, 0
	s_waitcnt vmcnt(3) lgkmcnt(7)
	v_mul_f32_e32 v31, v1, v5
	v_mul_f32_e32 v35, v1, v4
	s_waitcnt lgkmcnt(5)
	v_mul_f32_e32 v47, v3, v27
	v_fma_f32 v31, v0, v4, -v31
	v_fmac_f32_e32 v35, v0, v5
	v_mul_f32_e32 v0, v3, v28
	v_fmac_f32_e32 v47, v2, v28
	s_waitcnt vmcnt(2)
	v_mul_f32_e32 v28, v14, v25
	s_waitcnt lgkmcnt(3)
	v_mul_f32_e32 v1, v16, v40
	v_mul_f32_e32 v48, v16, v39
	v_fma_f32 v27, v2, v27, -v0
	v_mul_f32_e32 v0, v14, v26
	v_fmac_f32_e32 v28, v13, v26
	v_fma_f32 v26, v15, v39, -v1
	v_fmac_f32_e32 v48, v15, v40
	s_waitcnt vmcnt(1) lgkmcnt(0)
	v_mul_f32_e32 v15, v46, v18
	v_fma_f32 v25, v13, v25, -v0
	ds_read_b64 v[13:14], v38
	ds_read_b64 v[4:5], v38 offset:2592
	ds_read_b64 v[2:3], v38 offset:5184
	ds_read_b64 v[0:1], v38 offset:7776
	v_mul_f32_e32 v39, v18, v45
	v_fma_f32 v40, v17, v45, -v15
	v_mul_f32_e32 v45, v41, v20
	v_mul_f32_e32 v15, v42, v20
	v_fmac_f32_e32 v45, v42, v19
	s_waitcnt vmcnt(0)
	v_mul_f32_e32 v42, v29, v22
	v_mul_f32_e32 v16, v44, v24
	v_add_f32_e32 v18, v35, v47
	v_fmac_f32_e32 v39, v46, v17
	v_fma_f32 v41, v41, v19, -v15
	v_mul_f32_e32 v15, v30, v22
	v_fmac_f32_e32 v42, v30, v21
	v_fma_f32 v30, v43, v23, -v16
	v_add_f32_e32 v16, v31, v27
	s_waitcnt lgkmcnt(3)
	v_add_f32_e32 v17, v14, v35
	v_fmac_f32_e32 v14, -0.5, v18
	v_add_f32_e32 v22, v25, v26
	v_mul_f32_e32 v46, v43, v24
	v_fma_f32 v49, v29, v21, -v15
	v_add_f32_e32 v15, v13, v31
	v_sub_f32_e32 v21, v31, v27
	v_fma_f32 v13, -0.5, v16, v13
	s_waitcnt lgkmcnt(2)
	v_add_f32_e32 v19, v4, v25
	v_mov_b32_e32 v18, v14
	v_fma_f32 v4, -0.5, v22, v4
	v_add_f32_e32 v22, v28, v48
	v_fmac_f32_e32 v46, v44, v23
	v_sub_f32_e32 v20, v35, v47
	v_add_f32_e32 v16, v17, v47
	v_sub_f32_e32 v23, v28, v48
	v_add_f32_e32 v24, v5, v28
	v_mov_b32_e32 v17, v13
	v_fmac_f32_e32 v14, 0x3f5db3d7, v21
	v_fmac_f32_e32 v18, 0xbf5db3d7, v21
	v_mov_b32_e32 v21, v4
	v_fmac_f32_e32 v5, -0.5, v22
	v_fmac_f32_e32 v13, 0xbf5db3d7, v20
	v_fmac_f32_e32 v17, 0x3f5db3d7, v20
	v_fmac_f32_e32 v4, 0xbf5db3d7, v23
	v_fmac_f32_e32 v21, 0x3f5db3d7, v23
	v_add_f32_e32 v20, v24, v48
	v_sub_f32_e32 v23, v25, v26
	v_mov_b32_e32 v22, v5
	v_add_f32_e32 v24, v40, v41
	v_fmac_f32_e32 v22, 0xbf5db3d7, v23
	v_fmac_f32_e32 v5, 0x3f5db3d7, v23
	s_waitcnt lgkmcnt(1)
	v_add_f32_e32 v23, v2, v40
	v_fma_f32 v2, -0.5, v24, v2
	v_add_f32_e32 v19, v19, v26
	v_sub_f32_e32 v24, v39, v45
	v_mov_b32_e32 v25, v2
	v_add_f32_e32 v26, v39, v45
	v_fmac_f32_e32 v25, 0x3f5db3d7, v24
	v_fmac_f32_e32 v2, 0xbf5db3d7, v24
	v_add_f32_e32 v24, v3, v39
	v_fmac_f32_e32 v3, -0.5, v26
	v_add_f32_e32 v15, v15, v27
	v_sub_f32_e32 v27, v40, v41
	v_mov_b32_e32 v26, v3
	v_add_f32_e32 v28, v49, v30
	v_fmac_f32_e32 v26, 0xbf5db3d7, v27
	v_fmac_f32_e32 v3, 0x3f5db3d7, v27
	s_waitcnt lgkmcnt(0)
	v_add_f32_e32 v27, v0, v49
	v_fma_f32 v0, -0.5, v28, v0
	v_sub_f32_e32 v28, v42, v46
	v_mov_b32_e32 v29, v0
	v_add_f32_e32 v31, v42, v46
	v_fmac_f32_e32 v29, 0x3f5db3d7, v28
	v_fmac_f32_e32 v0, 0xbf5db3d7, v28
	v_add_f32_e32 v28, v1, v42
	v_fmac_f32_e32 v1, -0.5, v31
	v_add_f32_e32 v27, v27, v30
	v_sub_f32_e32 v31, v49, v30
	v_mov_b32_e32 v30, v1
	v_fmac_f32_e32 v30, 0xbf5db3d7, v31
	v_fmac_f32_e32 v1, 0x3f5db3d7, v31
	v_lshrrev_b32_e32 v31, 4, v34
	v_mul_u32_u24_e32 v31, 48, v31
	v_or_b32_e32 v12, v31, v12
	v_lshl_add_u32 v12, v12, 3, 0
	s_barrier
	ds_write2_b64 v12, v[15:16], v[17:18] offset1:16
	ds_write_b64 v12, v[13:14] offset:256
	v_lshrrev_b32_e32 v12, 4, v8
	v_mul_u32_u24_e32 v12, 48, v12
	v_or_b32_e32 v10, v12, v10
	v_lshl_add_u32 v10, v10, 3, 0
	ds_write2_b64 v10, v[19:20], v[21:22] offset1:16
	ds_write_b64 v10, v[4:5] offset:256
	v_lshrrev_b32_e32 v4, 4, v7
	v_mul_u32_u24_e32 v4, 48, v4
	v_or_b32_e32 v4, v4, v11
	v_add_f32_e32 v23, v23, v41
	v_add_f32_e32 v24, v24, v45
	v_lshl_add_u32 v4, v4, 3, 0
	ds_write2_b64 v4, v[23:24], v[25:26] offset1:16
	ds_write_b64 v4, v[2:3] offset:256
	v_lshrrev_b32_e32 v2, 4, v6
	v_mul_u32_u24_e32 v2, 48, v2
	v_or_b32_e32 v2, v2, v9
	v_add_f32_e32 v28, v28, v46
	v_lshl_add_u32 v2, v2, 3, 0
	ds_write2_b64 v2, v[27:28], v[29:30] offset1:16
	ds_write_b64 v2, v[0:1] offset:256
	v_mul_u32_u24_sdwa v0, v34, s4 dst_sel:DWORD dst_unused:UNUSED_PAD src0_sel:WORD_0 src1_sel:DWORD
	v_lshrrev_b32_e32 v13, 21, v0
	v_mul_lo_u16_e32 v0, 48, v13
	v_sub_u16_e32 v14, v34, v0
	v_lshlrev_b32_e32 v0, 4, v14
	s_waitcnt lgkmcnt(0)
	s_barrier
	global_load_dwordx4 v[0:3], v0, s[12:13] offset:256
	v_mul_u32_u24_sdwa v4, v8, s4 dst_sel:DWORD dst_unused:UNUSED_PAD src0_sel:WORD_0 src1_sel:DWORD
	v_lshrrev_b32_e32 v4, 21, v4
	v_mul_lo_u16_e32 v5, 48, v4
	v_sub_u16_e32 v5, v8, v5
	v_lshlrev_b32_e32 v9, 4, v5
	ds_read_b64 v[11:12], v38 offset:10368
	ds_read_b64 v[27:28], v38 offset:12960
	;; [unrolled: 1-line block ×8, first 2 shown]
	global_load_dwordx4 v[15:18], v9, s[12:13] offset:256
	v_mul_u32_u24_e32 v13, 0x480, v13
	v_lshlrev_b32_e32 v14, 3, v14
	v_mul_u32_u24_e32 v4, 0x480, v4
	v_lshlrev_b32_e32 v5, 3, v5
	v_add3_u32 v13, 0, v13, v14
	v_add3_u32 v4, 0, v4, v5
	s_waitcnt vmcnt(1) lgkmcnt(7)
	v_mul_f32_e32 v9, v1, v12
	v_fma_f32 v31, v0, v11, -v9
	v_mul_u32_u24_sdwa v9, v7, s4 dst_sel:DWORD dst_unused:UNUSED_PAD src0_sel:WORD_0 src1_sel:DWORD
	v_mul_f32_e32 v35, v1, v11
	v_lshrrev_b32_e32 v9, 21, v9
	v_fmac_f32_e32 v35, v0, v12
	s_waitcnt lgkmcnt(3)
	v_mul_f32_e32 v0, v3, v24
	v_mul_lo_u16_e32 v10, 48, v9
	v_fma_f32 v47, v2, v23, -v0
	v_mul_u32_u24_sdwa v0, v6, s4 dst_sel:DWORD dst_unused:UNUSED_PAD src0_sel:WORD_0 src1_sel:DWORD
	v_sub_u16_e32 v10, v7, v10
	v_lshrrev_b32_e32 v11, 21, v0
	v_lshlrev_b32_e32 v19, 4, v10
	v_mul_lo_u16_e32 v0, 48, v11
	global_load_dwordx4 v[19:22], v19, s[12:13] offset:256
	v_sub_u16_e32 v12, v6, v0
	v_mul_f32_e32 v48, v3, v23
	v_lshlrev_b32_e32 v0, 4, v12
	v_fmac_f32_e32 v48, v2, v24
	global_load_dwordx4 v[23:26], v0, s[12:13] offset:256
	s_waitcnt vmcnt(2)
	v_mul_f32_e32 v0, v16, v28
	v_fma_f32 v49, v15, v27, -v0
	v_mul_f32_e32 v27, v16, v27
	s_waitcnt lgkmcnt(2)
	v_mul_f32_e32 v0, v18, v42
	v_fmac_f32_e32 v27, v15, v28
	v_fma_f32 v28, v17, v41, -v0
	v_mul_f32_e32 v41, v18, v41
	v_fmac_f32_e32 v41, v17, v42
	v_lshlrev_b32_e32 v5, 3, v10
	s_mov_b32 s4, 0xe38f
	s_waitcnt vmcnt(1)
	v_mul_f32_e32 v0, v20, v30
	v_fma_f32 v42, v19, v29, -v0
	v_mul_f32_e32 v50, v20, v29
	s_waitcnt lgkmcnt(1)
	v_mul_f32_e32 v0, v44, v22
	v_fmac_f32_e32 v50, v19, v30
	v_fma_f32 v30, v43, v21, -v0
	v_mul_f32_e32 v43, v43, v22
	ds_read_b64 v[15:16], v38
	ds_read_b64 v[17:18], v38 offset:2592
	ds_read_b64 v[2:3], v38 offset:5184
	;; [unrolled: 1-line block ×3, first 2 shown]
	s_waitcnt vmcnt(0)
	v_mul_f32_e32 v19, v40, v24
	v_fmac_f32_e32 v43, v44, v21
	v_fma_f32 v44, v39, v23, -v19
	s_waitcnt lgkmcnt(4)
	v_mul_f32_e32 v19, v46, v26
	v_add_f32_e32 v20, v31, v47
	v_fma_f32 v52, v45, v25, -v19
	s_waitcnt lgkmcnt(3)
	v_add_f32_e32 v19, v15, v31
	v_fma_f32 v15, -0.5, v20, v15
	v_sub_f32_e32 v20, v35, v48
	v_mov_b32_e32 v21, v15
	v_add_f32_e32 v22, v35, v48
	v_mul_f32_e32 v51, v39, v24
	v_fmac_f32_e32 v21, 0x3f5db3d7, v20
	v_fmac_f32_e32 v15, 0xbf5db3d7, v20
	v_add_f32_e32 v20, v16, v35
	v_fmac_f32_e32 v16, -0.5, v22
	v_fmac_f32_e32 v51, v40, v23
	v_sub_f32_e32 v23, v31, v47
	v_mov_b32_e32 v22, v16
	v_add_f32_e32 v24, v49, v28
	v_mul_f32_e32 v45, v45, v26
	v_fmac_f32_e32 v22, 0xbf5db3d7, v23
	v_fmac_f32_e32 v16, 0x3f5db3d7, v23
	s_waitcnt lgkmcnt(2)
	v_add_f32_e32 v23, v17, v49
	v_fma_f32 v17, -0.5, v24, v17
	v_fmac_f32_e32 v45, v46, v25
	v_sub_f32_e32 v24, v27, v41
	v_mov_b32_e32 v25, v17
	v_add_f32_e32 v26, v27, v41
	v_fmac_f32_e32 v25, 0x3f5db3d7, v24
	v_fmac_f32_e32 v17, 0xbf5db3d7, v24
	v_add_f32_e32 v24, v18, v27
	v_fmac_f32_e32 v18, -0.5, v26
	v_add_f32_e32 v23, v23, v28
	v_sub_f32_e32 v27, v49, v28
	v_mov_b32_e32 v26, v18
	v_add_f32_e32 v28, v42, v30
	v_fmac_f32_e32 v26, 0xbf5db3d7, v27
	v_fmac_f32_e32 v18, 0x3f5db3d7, v27
	s_waitcnt lgkmcnt(1)
	v_add_f32_e32 v27, v2, v42
	v_fma_f32 v2, -0.5, v28, v2
	v_sub_f32_e32 v28, v50, v43
	v_mov_b32_e32 v29, v2
	v_add_f32_e32 v31, v50, v43
	v_fmac_f32_e32 v29, 0x3f5db3d7, v28
	v_fmac_f32_e32 v2, 0xbf5db3d7, v28
	v_add_f32_e32 v28, v3, v50
	v_fmac_f32_e32 v3, -0.5, v31
	v_add_f32_e32 v27, v27, v30
	v_sub_f32_e32 v31, v42, v30
	v_mov_b32_e32 v30, v3
	v_fmac_f32_e32 v30, 0xbf5db3d7, v31
	v_fmac_f32_e32 v3, 0x3f5db3d7, v31
	s_waitcnt lgkmcnt(0)
	v_add_f32_e32 v31, v0, v44
	v_add_f32_e32 v39, v31, v52
	;; [unrolled: 1-line block ×3, first 2 shown]
	v_fma_f32 v0, -0.5, v31, v0
	v_add_f32_e32 v24, v24, v41
	v_sub_f32_e32 v31, v51, v45
	v_mov_b32_e32 v41, v0
	v_add_f32_e32 v19, v19, v47
	v_add_f32_e32 v20, v20, v48
	v_fmac_f32_e32 v41, 0x3f5db3d7, v31
	v_fmac_f32_e32 v0, 0xbf5db3d7, v31
	v_add_f32_e32 v31, v1, v51
	v_add_f32_e32 v40, v31, v45
	;; [unrolled: 1-line block ×3, first 2 shown]
	s_barrier
	ds_write2_b64 v13, v[19:20], v[21:22] offset1:48
	ds_write_b64 v13, v[15:16] offset:768
	ds_write2_b64 v4, v[23:24], v[25:26] offset1:48
	ds_write_b64 v4, v[17:18] offset:768
	v_mul_u32_u24_e32 v4, 0x480, v9
	v_add_f32_e32 v28, v28, v43
	v_fmac_f32_e32 v1, -0.5, v31
	v_add3_u32 v4, 0, v4, v5
	v_sub_f32_e32 v31, v44, v52
	v_mov_b32_e32 v42, v1
	ds_write2_b64 v4, v[27:28], v[29:30] offset1:48
	ds_write_b64 v4, v[2:3] offset:768
	v_mul_u32_u24_e32 v2, 0x480, v11
	v_lshlrev_b32_e32 v3, 3, v12
	v_fmac_f32_e32 v42, 0xbf5db3d7, v31
	v_add3_u32 v2, 0, v2, v3
	v_fmac_f32_e32 v1, 0x3f5db3d7, v31
	ds_write2_b64 v2, v[39:40], v[41:42] offset1:48
	ds_write_b64 v2, v[0:1] offset:768
	v_mul_u32_u24_sdwa v0, v34, s4 dst_sel:DWORD dst_unused:UNUSED_PAD src0_sel:WORD_0 src1_sel:DWORD
	v_lshrrev_b32_e32 v13, 23, v0
	v_mul_lo_u16_e32 v0, 0x90, v13
	v_sub_u16_e32 v14, v34, v0
	v_lshlrev_b32_e32 v0, 4, v14
	s_waitcnt lgkmcnt(0)
	s_barrier
	global_load_dwordx4 v[0:3], v0, s[12:13] offset:1024
	v_mul_u32_u24_sdwa v4, v8, s4 dst_sel:DWORD dst_unused:UNUSED_PAD src0_sel:WORD_0 src1_sel:DWORD
	v_lshrrev_b32_e32 v4, 23, v4
	v_mul_lo_u16_e32 v5, 0x90, v4
	v_sub_u16_e32 v5, v8, v5
	v_lshlrev_b32_e32 v9, 4, v5
	ds_read_b64 v[11:12], v38 offset:10368
	ds_read_b64 v[27:28], v38 offset:12960
	;; [unrolled: 1-line block ×8, first 2 shown]
	global_load_dwordx4 v[15:18], v9, s[12:13] offset:1024
	v_mul_u32_u24_e32 v13, 0xd80, v13
	v_lshlrev_b32_e32 v14, 3, v14
	v_mul_u32_u24_e32 v4, 0xd80, v4
	v_lshlrev_b32_e32 v5, 3, v5
	v_add3_u32 v13, 0, v13, v14
	v_add3_u32 v4, 0, v4, v5
	s_waitcnt vmcnt(1) lgkmcnt(7)
	v_mul_f32_e32 v9, v1, v12
	v_fma_f32 v31, v0, v11, -v9
	v_mul_u32_u24_sdwa v9, v7, s4 dst_sel:DWORD dst_unused:UNUSED_PAD src0_sel:WORD_0 src1_sel:DWORD
	v_mul_f32_e32 v35, v1, v11
	v_lshrrev_b32_e32 v9, 23, v9
	v_fmac_f32_e32 v35, v0, v12
	s_waitcnt lgkmcnt(3)
	v_mul_f32_e32 v0, v3, v24
	v_mul_lo_u16_e32 v10, 0x90, v9
	v_fma_f32 v47, v2, v23, -v0
	v_mul_u32_u24_sdwa v0, v6, s4 dst_sel:DWORD dst_unused:UNUSED_PAD src0_sel:WORD_0 src1_sel:DWORD
	v_sub_u16_e32 v10, v7, v10
	v_lshrrev_b32_e32 v11, 23, v0
	v_lshlrev_b32_e32 v19, 4, v10
	v_mul_lo_u16_e32 v0, 0x90, v11
	global_load_dwordx4 v[19:22], v19, s[12:13] offset:1024
	v_sub_u16_e32 v12, v6, v0
	v_mul_f32_e32 v48, v3, v23
	v_lshlrev_b32_e32 v0, 4, v12
	v_fmac_f32_e32 v48, v2, v24
	global_load_dwordx4 v[23:26], v0, s[12:13] offset:1024
	s_waitcnt vmcnt(2)
	v_mul_f32_e32 v0, v16, v28
	v_fma_f32 v49, v15, v27, -v0
	v_mul_f32_e32 v27, v16, v27
	s_waitcnt lgkmcnt(2)
	v_mul_f32_e32 v0, v18, v42
	v_fmac_f32_e32 v27, v15, v28
	v_fma_f32 v28, v17, v41, -v0
	v_mul_f32_e32 v41, v18, v41
	v_fmac_f32_e32 v41, v17, v42
	v_lshlrev_b32_e32 v5, 3, v10
	s_movk_i32 s4, 0x6c
	s_waitcnt vmcnt(1)
	v_mul_f32_e32 v0, v20, v30
	v_fma_f32 v42, v19, v29, -v0
	v_mul_f32_e32 v50, v20, v29
	s_waitcnt lgkmcnt(1)
	v_mul_f32_e32 v0, v44, v22
	v_fmac_f32_e32 v50, v19, v30
	v_fma_f32 v30, v43, v21, -v0
	v_mul_f32_e32 v43, v43, v22
	ds_read_b64 v[15:16], v38
	ds_read_b64 v[17:18], v38 offset:2592
	ds_read_b64 v[2:3], v38 offset:5184
	;; [unrolled: 1-line block ×3, first 2 shown]
	s_waitcnt vmcnt(0)
	v_mul_f32_e32 v19, v40, v24
	v_fmac_f32_e32 v43, v44, v21
	v_fma_f32 v44, v39, v23, -v19
	s_waitcnt lgkmcnt(4)
	v_mul_f32_e32 v19, v46, v26
	v_add_f32_e32 v20, v31, v47
	v_fma_f32 v52, v45, v25, -v19
	s_waitcnt lgkmcnt(3)
	v_add_f32_e32 v19, v15, v31
	v_fma_f32 v15, -0.5, v20, v15
	v_sub_f32_e32 v20, v35, v48
	v_mov_b32_e32 v21, v15
	v_add_f32_e32 v22, v35, v48
	v_mul_f32_e32 v51, v39, v24
	v_fmac_f32_e32 v21, 0x3f5db3d7, v20
	v_fmac_f32_e32 v15, 0xbf5db3d7, v20
	v_add_f32_e32 v20, v16, v35
	v_fmac_f32_e32 v16, -0.5, v22
	v_fmac_f32_e32 v51, v40, v23
	v_sub_f32_e32 v23, v31, v47
	v_mov_b32_e32 v22, v16
	v_add_f32_e32 v24, v49, v28
	v_mul_f32_e32 v45, v45, v26
	v_fmac_f32_e32 v22, 0xbf5db3d7, v23
	v_fmac_f32_e32 v16, 0x3f5db3d7, v23
	s_waitcnt lgkmcnt(2)
	v_add_f32_e32 v23, v17, v49
	v_fma_f32 v17, -0.5, v24, v17
	v_fmac_f32_e32 v45, v46, v25
	v_sub_f32_e32 v24, v27, v41
	v_mov_b32_e32 v25, v17
	v_add_f32_e32 v26, v27, v41
	v_fmac_f32_e32 v25, 0x3f5db3d7, v24
	v_fmac_f32_e32 v17, 0xbf5db3d7, v24
	v_add_f32_e32 v24, v18, v27
	v_fmac_f32_e32 v18, -0.5, v26
	v_add_f32_e32 v23, v23, v28
	v_sub_f32_e32 v27, v49, v28
	v_mov_b32_e32 v26, v18
	v_add_f32_e32 v28, v42, v30
	v_fmac_f32_e32 v26, 0xbf5db3d7, v27
	v_fmac_f32_e32 v18, 0x3f5db3d7, v27
	s_waitcnt lgkmcnt(1)
	v_add_f32_e32 v27, v2, v42
	v_fma_f32 v2, -0.5, v28, v2
	v_sub_f32_e32 v28, v50, v43
	v_mov_b32_e32 v29, v2
	v_add_f32_e32 v31, v50, v43
	v_fmac_f32_e32 v29, 0x3f5db3d7, v28
	v_fmac_f32_e32 v2, 0xbf5db3d7, v28
	v_add_f32_e32 v28, v3, v50
	v_fmac_f32_e32 v3, -0.5, v31
	v_add_f32_e32 v27, v27, v30
	v_sub_f32_e32 v31, v42, v30
	v_mov_b32_e32 v30, v3
	v_fmac_f32_e32 v30, 0xbf5db3d7, v31
	v_fmac_f32_e32 v3, 0x3f5db3d7, v31
	s_waitcnt lgkmcnt(0)
	v_add_f32_e32 v31, v0, v44
	v_add_f32_e32 v39, v31, v52
	;; [unrolled: 1-line block ×3, first 2 shown]
	v_fma_f32 v0, -0.5, v31, v0
	v_add_f32_e32 v24, v24, v41
	v_sub_f32_e32 v31, v51, v45
	v_mov_b32_e32 v41, v0
	v_add_f32_e32 v19, v19, v47
	v_add_f32_e32 v20, v20, v48
	v_fmac_f32_e32 v41, 0x3f5db3d7, v31
	v_fmac_f32_e32 v0, 0xbf5db3d7, v31
	v_add_f32_e32 v31, v1, v51
	v_add_f32_e32 v40, v31, v45
	;; [unrolled: 1-line block ×3, first 2 shown]
	s_barrier
	ds_write2_b64 v13, v[19:20], v[21:22] offset1:144
	ds_write_b64 v13, v[15:16] offset:2304
	ds_write2_b64 v4, v[23:24], v[25:26] offset1:144
	ds_write_b64 v4, v[17:18] offset:2304
	v_mul_u32_u24_e32 v4, 0xd80, v9
	v_add_f32_e32 v28, v28, v43
	v_fmac_f32_e32 v1, -0.5, v31
	v_add3_u32 v4, 0, v4, v5
	v_sub_f32_e32 v31, v44, v52
	v_mov_b32_e32 v42, v1
	ds_write2_b64 v4, v[27:28], v[29:30] offset1:144
	ds_write_b64 v4, v[2:3] offset:2304
	v_mul_u32_u24_e32 v2, 0xd80, v11
	v_lshlrev_b32_e32 v3, 3, v12
	v_fmac_f32_e32 v42, 0xbf5db3d7, v31
	v_fmac_f32_e32 v1, 0x3f5db3d7, v31
	v_add3_u32 v2, 0, v2, v3
	ds_write2_b64 v2, v[39:40], v[41:42] offset1:144
	ds_write_b64 v2, v[0:1] offset:2304
	v_lshlrev_b32_e32 v0, 1, v34
	v_mov_b32_e32 v1, 0
	v_lshlrev_b64 v[2:3], 3, v[0:1]
	v_mov_b32_e32 v9, s13
	v_add_co_u32_e32 v2, vcc, s12, v2
	v_addc_co_u32_e32 v3, vcc, v9, v3, vcc
	v_add_u32_e32 v0, 0xffffff94, v34
	v_cmp_gt_u32_e32 vcc, s4, v34
	v_cndmask_b32_e32 v12, v0, v8, vcc
	v_lshlrev_b32_e32 v0, 1, v12
	v_lshlrev_b64 v[4:5], 3, v[0:1]
	s_waitcnt lgkmcnt(0)
	s_barrier
	global_load_dwordx4 v[13:16], v[2:3], off offset:3328
	v_add_co_u32_e32 v4, vcc, s12, v4
	v_addc_co_u32_e32 v5, vcc, v9, v5, vcc
	global_load_dwordx4 v[17:20], v[4:5], off offset:3328
	ds_read_b64 v[4:5], v38 offset:10368
	ds_read_b64 v[10:11], v38 offset:12960
	ds_read_b64 v[21:22], v38 offset:15552
	ds_read_b64 v[23:24], v38 offset:18144
	ds_read_b64 v[25:26], v38 offset:20736
	ds_read_b64 v[27:28], v38 offset:23328
	ds_read_b64 v[29:30], v38 offset:25920
	ds_read_b64 v[39:40], v38 offset:28512
	s_movk_i32 s4, 0x6b
	v_cmp_lt_u32_e32 vcc, s4, v34
	v_lshlrev_b32_e32 v12, 3, v12
	s_movk_i32 s4, 0x2000
	s_waitcnt vmcnt(1) lgkmcnt(7)
	v_mul_f32_e32 v0, v14, v5
	v_fma_f32 v31, v13, v4, -v0
	s_waitcnt lgkmcnt(3)
	v_mul_f32_e32 v0, v16, v26
	v_fma_f32 v41, v15, v25, -v0
	v_mul_f32_e32 v25, v16, v25
	s_waitcnt vmcnt(0)
	v_mul_f32_e32 v0, v18, v11
	v_fmac_f32_e32 v25, v15, v26
	v_fma_f32 v26, v17, v10, -v0
	s_waitcnt lgkmcnt(2)
	v_mul_f32_e32 v0, v20, v28
	v_fma_f32 v43, v19, v27, -v0
	v_lshrrev_b16_e32 v0, 4, v7
	v_mul_u32_u24_e32 v0, 0x12f7, v0
	v_mul_f32_e32 v42, v18, v10
	v_lshrrev_b32_e32 v10, 17, v0
	v_mul_lo_u16_e32 v0, 0x1b0, v10
	v_fmac_f32_e32 v42, v17, v11
	v_sub_u16_e32 v11, v7, v0
	v_mul_f32_e32 v35, v14, v4
	v_lshlrev_b32_e32 v0, 4, v11
	v_fmac_f32_e32 v35, v13, v5
	global_load_dwordx4 v[13:16], v0, s[12:13] offset:3328
	v_lshrrev_b16_e32 v0, 4, v6
	v_mul_u32_u24_e32 v0, 0x12f7, v0
	v_lshrrev_b32_e32 v0, 17, v0
	v_mul_lo_u16_e32 v0, 0x1b0, v0
	v_sub_u16_e32 v0, v6, v0
	v_mul_f32_e32 v27, v20, v27
	v_lshlrev_b32_e32 v4, 4, v0
	v_fmac_f32_e32 v27, v19, v28
	global_load_dwordx4 v[17:20], v4, s[12:13] offset:3328
	v_mul_u32_u24_e32 v10, 0x2880, v10
	v_lshlrev_b32_e32 v11, 3, v11
	v_add3_u32 v10, 0, v10, v11
	v_lshl_add_u32 v0, v0, 3, 0
	s_waitcnt vmcnt(1)
	v_mul_f32_e32 v4, v14, v22
	v_mul_f32_e32 v45, v14, v21
	v_fma_f32 v44, v13, v21, -v4
	v_fmac_f32_e32 v45, v13, v22
	ds_read_b64 v[13:14], v38
	s_waitcnt lgkmcnt(2)
	v_mul_f32_e32 v4, v30, v16
	v_fma_f32 v46, v29, v15, -v4
	v_mul_f32_e32 v47, v29, v16
	v_fmac_f32_e32 v47, v30, v15
	s_waitcnt vmcnt(0)
	v_mul_f32_e32 v4, v24, v18
	v_fma_f32 v48, v23, v17, -v4
	s_waitcnt lgkmcnt(1)
	v_mul_f32_e32 v4, v40, v20
	v_mul_f32_e32 v51, v39, v20
	v_add_f32_e32 v20, v31, v41
	v_mul_f32_e32 v49, v23, v18
	v_fma_f32 v50, v39, v19, -v4
	v_fmac_f32_e32 v51, v40, v19
	s_waitcnt lgkmcnt(0)
	v_add_f32_e32 v19, v13, v31
	v_fma_f32 v13, -0.5, v20, v13
	v_fmac_f32_e32 v49, v24, v17
	ds_read_b64 v[15:16], v38 offset:2592
	ds_read_b64 v[17:18], v38 offset:5184
	;; [unrolled: 1-line block ×3, first 2 shown]
	v_sub_f32_e32 v20, v35, v25
	v_mov_b32_e32 v21, v13
	v_add_f32_e32 v22, v35, v25
	v_fmac_f32_e32 v21, 0x3f5db3d7, v20
	v_fmac_f32_e32 v13, 0xbf5db3d7, v20
	v_add_f32_e32 v20, v14, v35
	v_fmac_f32_e32 v14, -0.5, v22
	v_sub_f32_e32 v23, v31, v41
	v_mov_b32_e32 v22, v14
	v_add_f32_e32 v24, v26, v43
	v_fmac_f32_e32 v22, 0xbf5db3d7, v23
	v_fmac_f32_e32 v14, 0x3f5db3d7, v23
	s_waitcnt lgkmcnt(2)
	v_add_f32_e32 v23, v15, v26
	v_fma_f32 v15, -0.5, v24, v15
	v_add_f32_e32 v20, v20, v25
	v_sub_f32_e32 v24, v42, v27
	v_mov_b32_e32 v25, v15
	v_fmac_f32_e32 v25, 0x3f5db3d7, v24
	v_fmac_f32_e32 v15, 0xbf5db3d7, v24
	v_add_f32_e32 v24, v16, v42
	v_add_f32_e32 v24, v24, v27
	;; [unrolled: 1-line block ×3, first 2 shown]
	v_fmac_f32_e32 v16, -0.5, v27
	v_sub_f32_e32 v27, v26, v43
	v_mov_b32_e32 v26, v16
	v_add_f32_e32 v28, v44, v46
	v_fmac_f32_e32 v26, 0xbf5db3d7, v27
	v_fmac_f32_e32 v16, 0x3f5db3d7, v27
	s_waitcnt lgkmcnt(1)
	v_add_f32_e32 v27, v17, v44
	v_fma_f32 v17, -0.5, v28, v17
	v_sub_f32_e32 v28, v45, v47
	v_mov_b32_e32 v29, v17
	v_add_f32_e32 v30, v45, v47
	v_fmac_f32_e32 v29, 0x3f5db3d7, v28
	v_fmac_f32_e32 v17, 0xbf5db3d7, v28
	v_add_f32_e32 v28, v18, v45
	v_fmac_f32_e32 v18, -0.5, v30
	v_sub_f32_e32 v31, v44, v46
	v_mov_b32_e32 v30, v18
	v_fmac_f32_e32 v30, 0xbf5db3d7, v31
	v_fmac_f32_e32 v18, 0x3f5db3d7, v31
	s_waitcnt lgkmcnt(0)
	v_add_f32_e32 v31, v4, v48
	v_add_f32_e32 v39, v31, v50
	;; [unrolled: 1-line block ×3, first 2 shown]
	v_fma_f32 v4, -0.5, v31, v4
	v_add_f32_e32 v19, v19, v41
	v_sub_f32_e32 v31, v49, v51
	v_mov_b32_e32 v41, v4
	v_fmac_f32_e32 v41, 0x3f5db3d7, v31
	v_fmac_f32_e32 v4, 0xbf5db3d7, v31
	v_add_f32_e32 v31, v5, v49
	v_add_f32_e32 v40, v31, v51
	;; [unrolled: 1-line block ×3, first 2 shown]
	s_barrier
	ds_write_b64 v38, v[19:20]
	ds_write_b64 v38, v[21:22] offset:3456
	ds_write_b64 v38, v[13:14] offset:6912
	v_mov_b32_e32 v13, 0x2880
	v_fmac_f32_e32 v5, -0.5, v31
	v_cndmask_b32_e32 v13, 0, v13, vcc
	v_add_f32_e32 v23, v23, v43
	v_add_f32_e32 v27, v27, v46
	;; [unrolled: 1-line block ×3, first 2 shown]
	v_sub_f32_e32 v31, v48, v50
	v_mov_b32_e32 v42, v5
	v_add3_u32 v12, 0, v13, v12
	v_fmac_f32_e32 v42, 0xbf5db3d7, v31
	v_fmac_f32_e32 v5, 0x3f5db3d7, v31
	ds_write_b64 v12, v[23:24]
	ds_write_b64 v12, v[25:26] offset:3456
	ds_write_b64 v12, v[15:16] offset:6912
	ds_write_b64 v10, v[27:28]
	ds_write_b64 v10, v[29:30] offset:3456
	ds_write_b64 v10, v[17:18] offset:6912
	;; [unrolled: 1-line block ×5, first 2 shown]
	v_lshlrev_b32_e32 v0, 1, v8
	v_add_co_u32_e32 v2, vcc, s4, v2
	v_lshlrev_b64 v[10:11], 3, v[0:1]
	v_addc_co_u32_e32 v3, vcc, 0, v3, vcc
	v_add_co_u32_e32 v0, vcc, s12, v10
	v_addc_co_u32_e32 v8, vcc, v9, v11, vcc
	v_add_co_u32_e32 v10, vcc, s4, v0
	v_lshlrev_b32_e32 v0, 1, v7
	v_addc_co_u32_e32 v11, vcc, 0, v8, vcc
	v_lshlrev_b64 v[7:8], 3, v[0:1]
	s_waitcnt lgkmcnt(0)
	v_add_co_u32_e32 v0, vcc, s12, v7
	v_addc_co_u32_e32 v8, vcc, v9, v8, vcc
	v_add_co_u32_e32 v7, vcc, s4, v0
	v_addc_co_u32_e32 v8, vcc, 0, v8, vcc
	v_lshlrev_b32_e32 v0, 1, v6
	s_barrier
	global_load_dwordx4 v[10:13], v[10:11], off offset:2048
	s_nop 0
	global_load_dwordx4 v[14:17], v[7:8], off offset:2048
	v_lshlrev_b64 v[6:7], 3, v[0:1]
	global_load_dwordx4 v[2:5], v[2:3], off offset:2048
	v_add_co_u32_e32 v0, vcc, s12, v6
	v_addc_co_u32_e32 v7, vcc, v9, v7, vcc
	v_add_co_u32_e32 v6, vcc, s4, v0
	v_addc_co_u32_e32 v7, vcc, 0, v7, vcc
	global_load_dwordx4 v[6:9], v[6:7], off offset:2048
	ds_read_b64 v[18:19], v38 offset:10368
	ds_read_b64 v[20:21], v38 offset:12960
	;; [unrolled: 1-line block ×8, first 2 shown]
	v_cmp_ne_u32_e32 vcc, 0, v34
	s_waitcnt vmcnt(3) lgkmcnt(6)
	v_mul_f32_e32 v43, v11, v21
	v_fma_f32 v43, v10, v20, -v43
	v_mul_f32_e32 v20, v11, v20
	v_fmac_f32_e32 v20, v10, v21
	s_waitcnt lgkmcnt(2)
	v_mul_f32_e32 v10, v13, v29
	v_fma_f32 v21, v12, v28, -v10
	s_waitcnt vmcnt(2)
	v_mul_f32_e32 v10, v15, v23
	s_waitcnt vmcnt(1)
	v_mul_f32_e32 v0, v3, v19
	v_mul_f32_e32 v35, v3, v18
	v_mul_f32_e32 v13, v13, v28
	v_fma_f32 v28, v14, v22, -v10
	v_mul_f32_e32 v22, v15, v22
	s_waitcnt lgkmcnt(1)
	v_mul_f32_e32 v10, v31, v17
	v_fma_f32 v0, v2, v18, -v0
	v_fmac_f32_e32 v35, v2, v19
	v_mul_f32_e32 v2, v5, v27
	v_mul_f32_e32 v42, v5, v26
	v_fmac_f32_e32 v22, v14, v23
	v_fma_f32 v23, v30, v16, -v10
	s_waitcnt vmcnt(0)
	v_mul_f32_e32 v10, v25, v7
	v_fma_f32 v41, v4, v26, -v2
	v_fmac_f32_e32 v42, v4, v27
	ds_read_b64 v[2:3], v38
	ds_read_b64 v[4:5], v38 offset:2592
	ds_read_b64 v[18:19], v38 offset:5184
	;; [unrolled: 1-line block ×3, first 2 shown]
	v_fmac_f32_e32 v13, v12, v29
	v_fma_f32 v29, v24, v6, -v10
	v_mul_f32_e32 v24, v24, v7
	v_fmac_f32_e32 v24, v25, v6
	s_waitcnt lgkmcnt(4)
	v_mul_f32_e32 v6, v40, v9
	v_add_f32_e32 v7, v0, v41
	v_mul_f32_e32 v17, v30, v17
	v_fma_f32 v25, v39, v8, -v6
	v_mul_f32_e32 v30, v39, v9
	s_waitcnt lgkmcnt(3)
	v_add_f32_e32 v6, v2, v0
	v_fma_f32 v2, -0.5, v7, v2
	v_fmac_f32_e32 v30, v40, v8
	v_sub_f32_e32 v7, v35, v42
	v_mov_b32_e32 v8, v2
	v_add_f32_e32 v9, v35, v42
	v_fmac_f32_e32 v8, 0x3f5db3d7, v7
	v_fmac_f32_e32 v2, 0xbf5db3d7, v7
	v_add_f32_e32 v7, v3, v35
	v_fmac_f32_e32 v3, -0.5, v9
	v_sub_f32_e32 v0, v0, v41
	v_mov_b32_e32 v9, v3
	v_fmac_f32_e32 v9, 0xbf5db3d7, v0
	v_fmac_f32_e32 v3, 0x3f5db3d7, v0
	s_waitcnt lgkmcnt(2)
	v_add_f32_e32 v0, v4, v43
	v_add_f32_e32 v10, v0, v21
	;; [unrolled: 1-line block ×3, first 2 shown]
	v_fma_f32 v4, -0.5, v0, v4
	v_sub_f32_e32 v0, v20, v13
	v_mov_b32_e32 v12, v4
	v_fmac_f32_e32 v12, 0x3f5db3d7, v0
	v_fmac_f32_e32 v4, 0xbf5db3d7, v0
	v_add_f32_e32 v0, v5, v20
	v_add_f32_e32 v11, v0, v13
	;; [unrolled: 1-line block ×3, first 2 shown]
	v_fmac_f32_e32 v5, -0.5, v0
	v_sub_f32_e32 v0, v43, v21
	v_mov_b32_e32 v13, v5
	v_fmac_f32_e32 v13, 0xbf5db3d7, v0
	v_fmac_f32_e32 v5, 0x3f5db3d7, v0
	s_waitcnt lgkmcnt(1)
	v_add_f32_e32 v0, v18, v28
	v_add_f32_e32 v14, v0, v23
	;; [unrolled: 1-line block ×3, first 2 shown]
	v_fmac_f32_e32 v17, v31, v16
	v_fma_f32 v18, -0.5, v0, v18
	v_sub_f32_e32 v0, v22, v17
	v_mov_b32_e32 v16, v18
	v_fmac_f32_e32 v16, 0x3f5db3d7, v0
	v_fmac_f32_e32 v18, 0xbf5db3d7, v0
	v_add_f32_e32 v0, v19, v22
	v_add_f32_e32 v15, v0, v17
	;; [unrolled: 1-line block ×3, first 2 shown]
	v_fmac_f32_e32 v19, -0.5, v0
	v_sub_f32_e32 v0, v28, v23
	v_mov_b32_e32 v17, v19
	v_fmac_f32_e32 v17, 0xbf5db3d7, v0
	v_fmac_f32_e32 v19, 0x3f5db3d7, v0
	s_waitcnt lgkmcnt(0)
	v_add_f32_e32 v0, v26, v29
	v_add_f32_e32 v20, v0, v25
	v_add_f32_e32 v0, v29, v25
	v_fma_f32 v26, -0.5, v0, v26
	v_sub_f32_e32 v0, v24, v30
	v_mov_b32_e32 v22, v26
	v_fmac_f32_e32 v22, 0x3f5db3d7, v0
	v_fmac_f32_e32 v26, 0xbf5db3d7, v0
	v_add_f32_e32 v0, v27, v24
	v_add_f32_e32 v21, v0, v30
	;; [unrolled: 1-line block ×3, first 2 shown]
	v_fmac_f32_e32 v27, -0.5, v0
	v_add_f32_e32 v6, v6, v41
	v_add_f32_e32 v7, v7, v42
	v_sub_f32_e32 v0, v29, v25
	v_mov_b32_e32 v23, v27
	v_fmac_f32_e32 v23, 0xbf5db3d7, v0
	v_fmac_f32_e32 v27, 0x3f5db3d7, v0
	s_barrier
	ds_write_b64 v38, v[6:7]
	ds_write_b64 v38, v[8:9] offset:10368
	ds_write_b64 v38, v[2:3] offset:20736
	;; [unrolled: 1-line block ×11, first 2 shown]
	s_waitcnt lgkmcnt(0)
	s_barrier
	ds_read_b64 v[2:3], v38
	v_lshlrev_b32_e32 v0, 3, v34
	v_sub_u32_e32 v6, 0, v0
                                        ; implicit-def: $vgpr0
                                        ; implicit-def: $vgpr7
                                        ; implicit-def: $vgpr8
                                        ; implicit-def: $vgpr4_vgpr5
	s_and_saveexec_b64 s[4:5], vcc
	s_xor_b64 s[4:5], exec, s[4:5]
	s_cbranch_execz .LBB0_17
; %bb.16:
	v_mov_b32_e32 v35, v1
	v_lshlrev_b64 v[0:1], 3, v[34:35]
	v_mov_b32_e32 v4, s7
	v_add_co_u32_e32 v0, vcc, s6, v0
	v_addc_co_u32_e32 v1, vcc, v4, v1, vcc
	global_load_dwordx2 v[0:1], v[0:1], off
	ds_read_b64 v[4:5], v6 offset:31104
	s_waitcnt lgkmcnt(0)
	v_add_f32_e32 v9, v4, v2
	v_sub_f32_e32 v2, v2, v4
	v_add_f32_e32 v7, v5, v3
	v_sub_f32_e32 v3, v3, v5
	v_mul_f32_e32 v2, 0.5, v2
	v_mul_f32_e32 v4, 0.5, v7
	;; [unrolled: 1-line block ×3, first 2 shown]
	s_waitcnt vmcnt(0)
	v_mul_f32_e32 v5, v1, v2
	v_fma_f32 v8, v4, v1, v3
	v_fma_f32 v1, v4, v1, -v3
	v_fma_f32 v7, 0.5, v9, v5
	v_fma_f32 v3, v9, 0.5, -v5
	v_fma_f32 v8, -v0, v2, v8
	v_fma_f32 v1, -v0, v2, v1
	v_fmac_f32_e32 v7, v0, v4
	v_fma_f32 v0, -v0, v4, v3
	v_mov_b32_e32 v4, v34
	v_mov_b32_e32 v5, v35
                                        ; implicit-def: $vgpr2_vgpr3
.LBB0_17:
	s_andn2_saveexec_b64 s[4:5], s[4:5]
	s_cbranch_execz .LBB0_19
; %bb.18:
	v_mov_b32_e32 v8, 0
	ds_read_b32 v1, v8 offset:15556
	v_mov_b32_e32 v4, 0
	s_waitcnt lgkmcnt(1)
	v_add_f32_e32 v7, v2, v3
	v_sub_f32_e32 v0, v2, v3
	v_mov_b32_e32 v5, 0
	s_waitcnt lgkmcnt(0)
	v_xor_b32_e32 v1, 0x80000000, v1
	ds_write_b32 v8, v1 offset:15556
	v_mov_b32_e32 v1, 0
.LBB0_19:
	s_or_b64 exec, exec, s[4:5]
	s_waitcnt lgkmcnt(0)
	v_lshlrev_b64 v[2:3], 3, v[4:5]
	v_mov_b32_e32 v4, s7
	v_add_co_u32_e32 v2, vcc, s6, v2
	v_addc_co_u32_e32 v3, vcc, v4, v3, vcc
	global_load_dwordx2 v[4:5], v[2:3], off offset:2592
	s_movk_i32 s4, 0x1000
	v_add_co_u32_e32 v9, vcc, s4, v2
	v_addc_co_u32_e32 v10, vcc, 0, v3, vcc
	global_load_dwordx2 v[11:12], v[9:10], off offset:1088
	global_load_dwordx2 v[13:14], v[9:10], off offset:3680
	s_movk_i32 s4, 0x2000
	v_add_co_u32_e32 v9, vcc, s4, v2
	ds_write2_b32 v38, v7, v8 offset1:1
	ds_write_b64 v6, v[0:1] offset:31104
	v_addc_co_u32_e32 v10, vcc, 0, v3, vcc
	ds_read_b64 v[0:1], v38 offset:2592
	ds_read_b64 v[7:8], v6 offset:28512
	global_load_dwordx2 v[9:10], v[9:10], off offset:2176
	s_movk_i32 s5, 0x3000
	v_add_u32_e32 v15, 0x800, v38
	v_add_co_u32_e32 v2, vcc, s5, v2
	s_waitcnt lgkmcnt(0)
	v_add_f32_e32 v17, v0, v7
	v_sub_f32_e32 v0, v0, v7
	v_add_f32_e32 v18, v1, v8
	v_sub_f32_e32 v1, v1, v8
	v_mul_f32_e32 v0, 0.5, v0
	v_mul_f32_e32 v7, 0.5, v18
	v_mul_f32_e32 v1, 0.5, v1
	v_addc_co_u32_e32 v3, vcc, 0, v3, vcc
	v_add_u32_e32 v16, 0x1400, v38
	s_waitcnt vmcnt(3)
	v_mul_f32_e32 v8, v5, v0
	v_fma_f32 v18, v7, v5, v1
	v_fma_f32 v1, v7, v5, -v1
	v_fma_f32 v5, 0.5, v17, v8
	v_fma_f32 v18, -v4, v0, v18
	v_fma_f32 v8, v17, 0.5, -v8
	v_fmac_f32_e32 v5, v4, v7
	v_fma_f32 v1, -v4, v0, v1
	v_fma_f32 v0, -v4, v7, v8
	ds_write2_b32 v15, v5, v18 offset0:136 offset1:137
	ds_write_b64 v6, v[0:1] offset:28512
	ds_read_b64 v[0:1], v38 offset:5184
	ds_read_b64 v[4:5], v6 offset:25920
	global_load_dwordx2 v[2:3], v[2:3], off offset:672
	s_waitcnt lgkmcnt(0)
	v_add_f32_e32 v7, v0, v4
	v_sub_f32_e32 v0, v0, v4
	v_add_f32_e32 v8, v1, v5
	v_sub_f32_e32 v1, v1, v5
	v_mul_f32_e32 v0, 0.5, v0
	v_mul_f32_e32 v4, 0.5, v8
	;; [unrolled: 1-line block ×3, first 2 shown]
	s_waitcnt vmcnt(3)
	v_mul_f32_e32 v5, v12, v0
	v_fma_f32 v8, v4, v12, v1
	v_fma_f32 v1, v4, v12, -v1
	v_fma_f32 v12, 0.5, v7, v5
	v_fma_f32 v8, -v11, v0, v8
	v_fma_f32 v5, v7, 0.5, -v5
	v_fmac_f32_e32 v12, v11, v4
	v_fma_f32 v1, -v11, v0, v1
	v_fma_f32 v0, -v11, v4, v5
	ds_write2_b32 v16, v12, v8 offset0:16 offset1:17
	ds_write_b64 v6, v[0:1] offset:25920
	ds_read_b64 v[0:1], v38 offset:7776
	ds_read_b64 v[4:5], v6 offset:23328
	v_add_u32_e32 v7, 0x1c00, v38
	s_waitcnt lgkmcnt(0)
	v_add_f32_e32 v8, v0, v4
	v_sub_f32_e32 v0, v0, v4
	v_add_f32_e32 v11, v1, v5
	v_sub_f32_e32 v1, v1, v5
	v_mul_f32_e32 v0, 0.5, v0
	v_mul_f32_e32 v4, 0.5, v11
	;; [unrolled: 1-line block ×3, first 2 shown]
	s_waitcnt vmcnt(2)
	v_mul_f32_e32 v5, v14, v0
	v_fma_f32 v11, v4, v14, v1
	v_fma_f32 v12, 0.5, v8, v5
	v_fma_f32 v1, v4, v14, -v1
	v_fma_f32 v11, -v13, v0, v11
	v_fma_f32 v5, v8, 0.5, -v5
	v_fmac_f32_e32 v12, v13, v4
	v_fma_f32 v1, -v13, v0, v1
	v_fma_f32 v0, -v13, v4, v5
	ds_write2_b32 v7, v12, v11 offset0:152 offset1:153
	ds_write_b64 v6, v[0:1] offset:23328
	ds_read_b64 v[0:1], v38 offset:10368
	ds_read_b64 v[4:5], v6 offset:20736
	v_add_u32_e32 v7, 0x2800, v38
	s_waitcnt lgkmcnt(0)
	v_add_f32_e32 v8, v0, v4
	v_sub_f32_e32 v0, v0, v4
	v_add_f32_e32 v11, v1, v5
	v_sub_f32_e32 v1, v1, v5
	v_mul_f32_e32 v0, 0.5, v0
	v_mul_f32_e32 v4, 0.5, v11
	;; [unrolled: 1-line block ×3, first 2 shown]
	s_waitcnt vmcnt(1)
	v_mul_f32_e32 v5, v10, v0
	v_fma_f32 v11, v4, v10, v1
	v_fma_f32 v1, v4, v10, -v1
	v_fma_f32 v10, 0.5, v8, v5
	v_fma_f32 v11, -v9, v0, v11
	v_fma_f32 v5, v8, 0.5, -v5
	v_fmac_f32_e32 v10, v9, v4
	v_fma_f32 v1, -v9, v0, v1
	v_fma_f32 v0, -v9, v4, v5
	ds_write2_b32 v7, v10, v11 offset0:32 offset1:33
	ds_write_b64 v6, v[0:1] offset:20736
	ds_read_b64 v[0:1], v38 offset:12960
	ds_read_b64 v[4:5], v6 offset:18144
	s_waitcnt lgkmcnt(0)
	v_add_f32_e32 v7, v0, v4
	v_sub_f32_e32 v0, v0, v4
	v_add_f32_e32 v8, v1, v5
	v_sub_f32_e32 v1, v1, v5
	v_mul_f32_e32 v0, 0.5, v0
	v_mul_f32_e32 v4, 0.5, v8
	;; [unrolled: 1-line block ×3, first 2 shown]
	s_waitcnt vmcnt(0)
	v_mul_f32_e32 v5, v3, v0
	v_fma_f32 v8, v4, v3, v1
	v_fma_f32 v1, v4, v3, -v1
	v_fma_f32 v3, 0.5, v7, v5
	v_fma_f32 v5, v7, 0.5, -v5
	v_fma_f32 v8, -v2, v0, v8
	v_fma_f32 v1, -v2, v0, v1
	v_fmac_f32_e32 v3, v2, v4
	v_fma_f32 v0, -v2, v4, v5
	v_add_u32_e32 v2, 0x3000, v38
	ds_write2_b32 v2, v3, v8 offset0:168 offset1:169
	ds_write_b64 v6, v[0:1] offset:18144
	s_waitcnt lgkmcnt(0)
	s_barrier
	s_and_saveexec_b64 s[4:5], s[0:1]
	s_cbranch_execz .LBB0_22
; %bb.20:
	v_mul_lo_u32 v2, s3, v36
	v_mul_lo_u32 v3, s2, v37
	v_mad_u64_u32 v[0:1], s[0:1], s2, v36, 0
	v_mov_b32_e32 v4, s11
	v_lshl_add_u32 v12, v34, 3, 0
	v_add3_u32 v1, v1, v3, v2
	v_lshlrev_b64 v[0:1], 3, v[0:1]
	v_mov_b32_e32 v35, 0
	v_add_co_u32_e32 v0, vcc, s10, v0
	v_addc_co_u32_e32 v6, vcc, v4, v1, vcc
	v_lshlrev_b64 v[4:5], 3, v[32:33]
	ds_read_b64 v[2:3], v12
	v_add_co_u32_e32 v1, vcc, v0, v4
	v_addc_co_u32_e32 v0, vcc, v6, v5, vcc
	v_lshlrev_b64 v[4:5], 3, v[34:35]
	ds_read_b64 v[6:7], v12 offset:2592
	ds_read_b64 v[8:9], v12 offset:5184
	;; [unrolled: 1-line block ×3, first 2 shown]
	v_add_co_u32_e32 v4, vcc, v1, v4
	v_addc_co_u32_e32 v5, vcc, v0, v5, vcc
	s_waitcnt lgkmcnt(3)
	global_store_dwordx2 v[4:5], v[2:3], off
	v_add_u32_e32 v2, 0x144, v34
	v_mov_b32_e32 v3, v35
	v_lshlrev_b64 v[2:3], 3, v[2:3]
	ds_read_b64 v[4:5], v12 offset:10368
	v_add_co_u32_e32 v2, vcc, v1, v2
	v_addc_co_u32_e32 v3, vcc, v0, v3, vcc
	s_waitcnt lgkmcnt(3)
	global_store_dwordx2 v[2:3], v[6:7], off
	v_add_u32_e32 v2, 0x288, v34
	v_mov_b32_e32 v3, v35
	v_lshlrev_b64 v[2:3], 3, v[2:3]
	s_movk_i32 s0, 0x143
	v_add_co_u32_e32 v2, vcc, v1, v2
	v_addc_co_u32_e32 v3, vcc, v0, v3, vcc
	s_waitcnt lgkmcnt(2)
	global_store_dwordx2 v[2:3], v[8:9], off
	v_add_u32_e32 v2, 0x3cc, v34
	v_mov_b32_e32 v3, v35
	v_lshlrev_b64 v[2:3], 3, v[2:3]
	v_add_co_u32_e32 v2, vcc, v1, v2
	v_addc_co_u32_e32 v3, vcc, v0, v3, vcc
	s_waitcnt lgkmcnt(1)
	global_store_dwordx2 v[2:3], v[10:11], off
	v_add_u32_e32 v2, 0x510, v34
	v_mov_b32_e32 v3, v35
	v_lshlrev_b64 v[2:3], 3, v[2:3]
	ds_read_b64 v[6:7], v12 offset:12960
	ds_read_b64 v[8:9], v12 offset:15552
	;; [unrolled: 1-line block ×3, first 2 shown]
	v_add_co_u32_e32 v2, vcc, v1, v2
	v_addc_co_u32_e32 v3, vcc, v0, v3, vcc
	s_waitcnt lgkmcnt(3)
	global_store_dwordx2 v[2:3], v[4:5], off
	v_add_u32_e32 v2, 0x654, v34
	v_mov_b32_e32 v3, v35
	v_lshlrev_b64 v[2:3], 3, v[2:3]
	ds_read_b64 v[4:5], v12 offset:20736
	v_add_co_u32_e32 v2, vcc, v1, v2
	v_addc_co_u32_e32 v3, vcc, v0, v3, vcc
	s_waitcnt lgkmcnt(3)
	global_store_dwordx2 v[2:3], v[6:7], off
	v_add_u32_e32 v2, 0x798, v34
	v_mov_b32_e32 v3, v35
	v_lshlrev_b64 v[2:3], 3, v[2:3]
	v_add_co_u32_e32 v2, vcc, v1, v2
	v_addc_co_u32_e32 v3, vcc, v0, v3, vcc
	s_waitcnt lgkmcnt(2)
	global_store_dwordx2 v[2:3], v[8:9], off
	v_add_u32_e32 v2, 0x8dc, v34
	v_mov_b32_e32 v3, v35
	v_lshlrev_b64 v[2:3], 3, v[2:3]
	;; [unrolled: 7-line block ×3, first 2 shown]
	ds_read_b64 v[6:7], v12 offset:23328
	ds_read_b64 v[8:9], v12 offset:25920
	;; [unrolled: 1-line block ×3, first 2 shown]
	v_add_co_u32_e32 v2, vcc, v1, v2
	v_addc_co_u32_e32 v3, vcc, v0, v3, vcc
	s_waitcnt lgkmcnt(3)
	global_store_dwordx2 v[2:3], v[4:5], off
	v_add_u32_e32 v2, 0xb64, v34
	v_mov_b32_e32 v3, v35
	v_lshlrev_b64 v[2:3], 3, v[2:3]
	v_add_co_u32_e32 v2, vcc, v1, v2
	v_addc_co_u32_e32 v3, vcc, v0, v3, vcc
	s_waitcnt lgkmcnt(2)
	global_store_dwordx2 v[2:3], v[6:7], off
	v_add_u32_e32 v2, 0xca8, v34
	v_mov_b32_e32 v3, v35
	v_lshlrev_b64 v[2:3], 3, v[2:3]
	;; [unrolled: 7-line block ×3, first 2 shown]
	v_add_co_u32_e32 v2, vcc, v1, v2
	v_addc_co_u32_e32 v3, vcc, v0, v3, vcc
	v_cmp_eq_u32_e32 vcc, s0, v34
	s_waitcnt lgkmcnt(0)
	global_store_dwordx2 v[2:3], v[10:11], off
	s_and_b64 exec, exec, vcc
	s_cbranch_execz .LBB0_22
; %bb.21:
	ds_read_b64 v[2:3], v35 offset:31104
	v_add_co_u32_e32 v4, vcc, 0x7000, v1
	v_addc_co_u32_e32 v5, vcc, 0, v0, vcc
	s_waitcnt lgkmcnt(0)
	global_store_dwordx2 v[4:5], v[2:3], off offset:2432
.LBB0_22:
	s_endpgm
	.section	.rodata,"a",@progbits
	.p2align	6, 0x0
	.amdhsa_kernel fft_rtc_fwd_len3888_factors_16_3_3_3_3_3_wgs_324_tpt_324_halfLds_sp_op_CI_CI_unitstride_sbrr_R2C_dirReg
		.amdhsa_group_segment_fixed_size 0
		.amdhsa_private_segment_fixed_size 0
		.amdhsa_kernarg_size 104
		.amdhsa_user_sgpr_count 6
		.amdhsa_user_sgpr_private_segment_buffer 1
		.amdhsa_user_sgpr_dispatch_ptr 0
		.amdhsa_user_sgpr_queue_ptr 0
		.amdhsa_user_sgpr_kernarg_segment_ptr 1
		.amdhsa_user_sgpr_dispatch_id 0
		.amdhsa_user_sgpr_flat_scratch_init 0
		.amdhsa_user_sgpr_private_segment_size 0
		.amdhsa_uses_dynamic_stack 0
		.amdhsa_system_sgpr_private_segment_wavefront_offset 0
		.amdhsa_system_sgpr_workgroup_id_x 1
		.amdhsa_system_sgpr_workgroup_id_y 0
		.amdhsa_system_sgpr_workgroup_id_z 0
		.amdhsa_system_sgpr_workgroup_info 0
		.amdhsa_system_vgpr_workitem_id 0
		.amdhsa_next_free_vgpr 53
		.amdhsa_next_free_sgpr 28
		.amdhsa_reserve_vcc 1
		.amdhsa_reserve_flat_scratch 0
		.amdhsa_float_round_mode_32 0
		.amdhsa_float_round_mode_16_64 0
		.amdhsa_float_denorm_mode_32 3
		.amdhsa_float_denorm_mode_16_64 3
		.amdhsa_dx10_clamp 1
		.amdhsa_ieee_mode 1
		.amdhsa_fp16_overflow 0
		.amdhsa_exception_fp_ieee_invalid_op 0
		.amdhsa_exception_fp_denorm_src 0
		.amdhsa_exception_fp_ieee_div_zero 0
		.amdhsa_exception_fp_ieee_overflow 0
		.amdhsa_exception_fp_ieee_underflow 0
		.amdhsa_exception_fp_ieee_inexact 0
		.amdhsa_exception_int_div_zero 0
	.end_amdhsa_kernel
	.text
.Lfunc_end0:
	.size	fft_rtc_fwd_len3888_factors_16_3_3_3_3_3_wgs_324_tpt_324_halfLds_sp_op_CI_CI_unitstride_sbrr_R2C_dirReg, .Lfunc_end0-fft_rtc_fwd_len3888_factors_16_3_3_3_3_3_wgs_324_tpt_324_halfLds_sp_op_CI_CI_unitstride_sbrr_R2C_dirReg
                                        ; -- End function
	.section	.AMDGPU.csdata,"",@progbits
; Kernel info:
; codeLenInByte = 9340
; NumSgprs: 32
; NumVgprs: 53
; ScratchSize: 0
; MemoryBound: 0
; FloatMode: 240
; IeeeMode: 1
; LDSByteSize: 0 bytes/workgroup (compile time only)
; SGPRBlocks: 3
; VGPRBlocks: 13
; NumSGPRsForWavesPerEU: 32
; NumVGPRsForWavesPerEU: 53
; Occupancy: 4
; WaveLimiterHint : 1
; COMPUTE_PGM_RSRC2:SCRATCH_EN: 0
; COMPUTE_PGM_RSRC2:USER_SGPR: 6
; COMPUTE_PGM_RSRC2:TRAP_HANDLER: 0
; COMPUTE_PGM_RSRC2:TGID_X_EN: 1
; COMPUTE_PGM_RSRC2:TGID_Y_EN: 0
; COMPUTE_PGM_RSRC2:TGID_Z_EN: 0
; COMPUTE_PGM_RSRC2:TIDIG_COMP_CNT: 0
	.type	__hip_cuid_a793daf5a08b147f,@object ; @__hip_cuid_a793daf5a08b147f
	.section	.bss,"aw",@nobits
	.globl	__hip_cuid_a793daf5a08b147f
__hip_cuid_a793daf5a08b147f:
	.byte	0                               ; 0x0
	.size	__hip_cuid_a793daf5a08b147f, 1

	.ident	"AMD clang version 19.0.0git (https://github.com/RadeonOpenCompute/llvm-project roc-6.4.0 25133 c7fe45cf4b819c5991fe208aaa96edf142730f1d)"
	.section	".note.GNU-stack","",@progbits
	.addrsig
	.addrsig_sym __hip_cuid_a793daf5a08b147f
	.amdgpu_metadata
---
amdhsa.kernels:
  - .args:
      - .actual_access:  read_only
        .address_space:  global
        .offset:         0
        .size:           8
        .value_kind:     global_buffer
      - .offset:         8
        .size:           8
        .value_kind:     by_value
      - .actual_access:  read_only
        .address_space:  global
        .offset:         16
        .size:           8
        .value_kind:     global_buffer
      - .actual_access:  read_only
        .address_space:  global
        .offset:         24
        .size:           8
        .value_kind:     global_buffer
      - .actual_access:  read_only
        .address_space:  global
        .offset:         32
        .size:           8
        .value_kind:     global_buffer
      - .offset:         40
        .size:           8
        .value_kind:     by_value
      - .actual_access:  read_only
        .address_space:  global
        .offset:         48
        .size:           8
        .value_kind:     global_buffer
      - .actual_access:  read_only
        .address_space:  global
        .offset:         56
        .size:           8
        .value_kind:     global_buffer
      - .offset:         64
        .size:           4
        .value_kind:     by_value
      - .actual_access:  read_only
        .address_space:  global
        .offset:         72
        .size:           8
        .value_kind:     global_buffer
      - .actual_access:  read_only
        .address_space:  global
        .offset:         80
        .size:           8
        .value_kind:     global_buffer
      - .actual_access:  read_only
        .address_space:  global
        .offset:         88
        .size:           8
        .value_kind:     global_buffer
      - .actual_access:  write_only
        .address_space:  global
        .offset:         96
        .size:           8
        .value_kind:     global_buffer
    .group_segment_fixed_size: 0
    .kernarg_segment_align: 8
    .kernarg_segment_size: 104
    .language:       OpenCL C
    .language_version:
      - 2
      - 0
    .max_flat_workgroup_size: 324
    .name:           fft_rtc_fwd_len3888_factors_16_3_3_3_3_3_wgs_324_tpt_324_halfLds_sp_op_CI_CI_unitstride_sbrr_R2C_dirReg
    .private_segment_fixed_size: 0
    .sgpr_count:     32
    .sgpr_spill_count: 0
    .symbol:         fft_rtc_fwd_len3888_factors_16_3_3_3_3_3_wgs_324_tpt_324_halfLds_sp_op_CI_CI_unitstride_sbrr_R2C_dirReg.kd
    .uniform_work_group_size: 1
    .uses_dynamic_stack: false
    .vgpr_count:     53
    .vgpr_spill_count: 0
    .wavefront_size: 64
amdhsa.target:   amdgcn-amd-amdhsa--gfx906
amdhsa.version:
  - 1
  - 2
...

	.end_amdgpu_metadata
